;; amdgpu-corpus repo=ROCm/rocFFT kind=compiled arch=gfx1030 opt=O3
	.text
	.amdgcn_target "amdgcn-amd-amdhsa--gfx1030"
	.amdhsa_code_object_version 6
	.protected	fft_rtc_fwd_len192_factors_8_6_4_wgs_480_tpt_48_sp_op_CI_CI_sbcc_twdbase5_3step_dirReg_intrinsicRead ; -- Begin function fft_rtc_fwd_len192_factors_8_6_4_wgs_480_tpt_48_sp_op_CI_CI_sbcc_twdbase5_3step_dirReg_intrinsicRead
	.globl	fft_rtc_fwd_len192_factors_8_6_4_wgs_480_tpt_48_sp_op_CI_CI_sbcc_twdbase5_3step_dirReg_intrinsicRead
	.p2align	8
	.type	fft_rtc_fwd_len192_factors_8_6_4_wgs_480_tpt_48_sp_op_CI_CI_sbcc_twdbase5_3step_dirReg_intrinsicRead,@function
fft_rtc_fwd_len192_factors_8_6_4_wgs_480_tpt_48_sp_op_CI_CI_sbcc_twdbase5_3step_dirReg_intrinsicRead: ; @fft_rtc_fwd_len192_factors_8_6_4_wgs_480_tpt_48_sp_op_CI_CI_sbcc_twdbase5_3step_dirReg_intrinsicRead
; %bb.0:
	s_clause 0x1
	s_load_dwordx8 s[8:15], s[4:5], 0x8
	s_load_dwordx2 s[30:31], s[4:5], 0x28
	s_mov_b32 s0, exec_lo
	v_cmpx_gt_u32_e32 0x60, v0
	s_cbranch_execz .LBB0_2
; %bb.1:
	v_lshlrev_b32_e32 v3, 3, v0
	s_waitcnt lgkmcnt(0)
	global_load_dwordx2 v[1:2], v3, s[8:9]
	v_add_nc_u32_e32 v3, 0, v3
	s_waitcnt vmcnt(0)
	ds_write_b64 v3, v[1:2] offset:15360
.LBB0_2:
	s_or_b32 exec_lo, exec_lo, s0
	s_waitcnt lgkmcnt(0)
	s_load_dwordx2 s[34:35], s[12:13], 0x8
	s_waitcnt lgkmcnt(0)
	s_add_u32 s0, s34, -1
	s_addc_u32 s1, s35, -1
	s_add_u32 s2, 0, 0x99986000
	s_addc_u32 s3, 0, 0x59
	s_mul_hi_u32 s8, s2, -10
	s_add_i32 s3, s3, 0x19999940
	s_sub_i32 s8, s8, s2
	s_mul_i32 s16, s3, -10
	s_mul_i32 s7, s2, -10
	s_add_i32 s8, s8, s16
	s_mul_hi_u32 s9, s2, s7
	s_mul_i32 s18, s2, s8
	s_mul_hi_u32 s16, s2, s8
	s_mul_hi_u32 s17, s3, s7
	s_mul_i32 s7, s3, s7
	s_add_u32 s9, s9, s18
	s_addc_u32 s16, 0, s16
	s_mul_hi_u32 s19, s3, s8
	s_add_u32 s7, s9, s7
	s_mul_i32 s8, s3, s8
	s_addc_u32 s7, s16, s17
	s_addc_u32 s9, s19, 0
	s_add_u32 s7, s7, s8
	v_add_co_u32 v1, s2, s2, s7
	s_addc_u32 s7, 0, s9
	s_cmp_lg_u32 s2, 0
	s_addc_u32 s2, s3, s7
	v_readfirstlane_b32 s3, v1
	s_mul_i32 s8, s0, s2
	s_mul_hi_u32 s7, s0, s2
	s_mul_hi_u32 s9, s1, s2
	s_mul_i32 s2, s1, s2
	s_mul_hi_u32 s16, s0, s3
	s_mul_hi_u32 s17, s1, s3
	s_mul_i32 s3, s1, s3
	s_add_u32 s8, s16, s8
	s_addc_u32 s7, 0, s7
	s_add_u32 s3, s8, s3
	s_addc_u32 s3, s7, s17
	s_addc_u32 s7, s9, 0
	s_add_u32 s2, s3, s2
	s_addc_u32 s3, 0, s7
	s_mul_i32 s8, s2, 10
	s_add_u32 s7, s2, 1
	v_sub_co_u32 v1, s0, s0, s8
	s_mul_hi_u32 s8, s2, 10
	s_addc_u32 s9, s3, 0
	s_mul_i32 s16, s3, 10
	v_sub_co_u32 v2, s17, v1, 10
	s_add_u32 s18, s2, 2
	s_addc_u32 s19, s3, 0
	s_add_i32 s8, s8, s16
	s_cmp_lg_u32 s0, 0
	v_readfirstlane_b32 s0, v2
	s_subb_u32 s1, s1, s8
	s_cmp_lg_u32 s17, 0
	s_subb_u32 s8, s1, 0
	s_cmp_gt_u32 s0, 9
	s_cselect_b32 s0, -1, 0
	s_cmp_eq_u32 s8, 0
	v_readfirstlane_b32 s8, v1
	s_cselect_b32 s0, s0, -1
	s_cmp_lg_u32 s0, 0
	s_cselect_b32 s0, s18, s7
	s_cselect_b32 s9, s19, s9
	s_cmp_gt_u32 s8, 9
	s_cselect_b32 s7, -1, 0
	s_cmp_eq_u32 s1, 0
	s_cselect_b32 s1, s7, -1
	s_mov_b32 s7, 0
	s_cmp_lg_u32 s1, 0
	s_cselect_b32 s0, s0, s2
	s_cselect_b32 s1, s9, s3
	s_add_u32 s0, s0, 1
	s_addc_u32 s1, s1, 0
	s_mov_b64 s[8:9], 0
	v_cmp_lt_u64_e64 s2, s[6:7], s[0:1]
	s_and_b32 vcc_lo, exec_lo, s2
	s_cbranch_vccnz .LBB0_4
; %bb.3:
	v_cvt_f32_u32_e32 v1, s0
	s_sub_i32 s3, 0, s0
	v_rcp_iflag_f32_e32 v1, v1
	v_mul_f32_e32 v1, 0x4f7ffffe, v1
	v_cvt_u32_f32_e32 v1, v1
	v_readfirstlane_b32 s2, v1
	s_mul_i32 s3, s3, s2
	s_mul_hi_u32 s3, s2, s3
	s_add_i32 s2, s2, s3
	s_mul_hi_u32 s2, s6, s2
	s_mul_i32 s3, s2, s0
	s_add_i32 s8, s2, 1
	s_sub_i32 s3, s6, s3
	s_sub_i32 s9, s3, s0
	s_cmp_ge_u32 s3, s0
	s_cselect_b32 s2, s8, s2
	s_cselect_b32 s3, s9, s3
	s_add_i32 s8, s2, 1
	s_cmp_ge_u32 s3, s0
	s_mov_b32 s9, s7
	s_cselect_b32 s8, s8, s2
.LBB0_4:
	s_load_dwordx4 s[24:27], s[14:15], 0x0
	s_load_dwordx4 s[16:19], s[30:31], 0x0
	s_clause 0x1
	s_load_dwordx4 s[20:23], s[4:5], 0x60
	s_load_dwordx2 s[28:29], s[4:5], 0x0
	s_mul_i32 s2, s8, s1
	s_mul_hi_u32 s3, s8, s0
	s_mul_i32 s4, s8, s0
	s_add_i32 s3, s3, s2
	s_sub_u32 s33, s6, s4
	s_subb_u32 s2, 0, s3
	s_waitcnt lgkmcnt(0)
	s_mul_hi_u32 s25, s33, 10
	s_mul_i32 s2, s2, 10
	v_cmp_lt_u64_e64 s4, s[10:11], 3
	s_add_i32 s25, s25, s2
	s_mul_i32 s33, s33, 10
	s_and_b32 vcc_lo, exec_lo, s4
	s_mul_i32 s2, s26, s25
	s_mul_hi_u32 s3, s26, s33
	s_mul_i32 s36, s18, s25
	s_mul_hi_u32 s37, s18, s33
	s_mul_i32 s5, s27, s33
	s_mul_i32 s38, s19, s33
	s_add_i32 s2, s3, s2
	s_add_i32 s3, s37, s36
	s_mul_i32 s27, s26, s33
	s_add_i32 s46, s2, s5
	s_add_i32 s3, s3, s38
	s_mul_i32 s2, s18, s33
	s_cbranch_vccnz .LBB0_14
; %bb.5:
	s_add_u32 s4, s30, 16
	s_addc_u32 s5, s31, 0
	s_add_u32 s36, s14, 16
	s_addc_u32 s37, s15, 0
	;; [unrolled: 2-line block ×3, first 2 shown]
	s_mov_b64 s[38:39], 2
	s_mov_b32 s40, 0
.LBB0_6:                                ; =>This Inner Loop Header: Depth=1
	s_load_dwordx2 s[42:43], s[12:13], 0x0
	s_waitcnt lgkmcnt(0)
	s_or_b64 s[44:45], s[8:9], s[42:43]
	s_mov_b32 s41, s45
                                        ; implicit-def: $sgpr44_sgpr45
	s_cmp_lg_u64 s[40:41], 0
	s_mov_b32 s41, -1
	s_cbranch_scc0 .LBB0_8
; %bb.7:                                ;   in Loop: Header=BB0_6 Depth=1
	v_cvt_f32_u32_e32 v1, s42
	v_cvt_f32_u32_e32 v2, s43
	s_sub_u32 s45, 0, s42
	s_subb_u32 s47, 0, s43
	v_fmac_f32_e32 v1, 0x4f800000, v2
	v_rcp_f32_e32 v1, v1
	v_mul_f32_e32 v1, 0x5f7ffffc, v1
	v_mul_f32_e32 v2, 0x2f800000, v1
	v_trunc_f32_e32 v2, v2
	v_fmac_f32_e32 v1, 0xcf800000, v2
	v_cvt_u32_f32_e32 v2, v2
	v_cvt_u32_f32_e32 v1, v1
	v_readfirstlane_b32 s41, v2
	v_readfirstlane_b32 s44, v1
	s_mul_i32 s48, s45, s41
	s_mul_hi_u32 s50, s45, s44
	s_mul_i32 s49, s47, s44
	s_add_i32 s48, s50, s48
	s_mul_i32 s51, s45, s44
	s_add_i32 s48, s48, s49
	s_mul_hi_u32 s50, s44, s51
	s_mul_hi_u32 s52, s41, s51
	s_mul_i32 s49, s41, s51
	s_mul_hi_u32 s51, s44, s48
	s_mul_i32 s44, s44, s48
	s_mul_hi_u32 s53, s41, s48
	s_add_u32 s44, s50, s44
	s_addc_u32 s50, 0, s51
	s_add_u32 s44, s44, s49
	s_mul_i32 s48, s41, s48
	s_addc_u32 s44, s50, s52
	s_addc_u32 s49, s53, 0
	s_add_u32 s44, s44, s48
	s_addc_u32 s48, 0, s49
	v_add_co_u32 v1, s44, v1, s44
	s_cmp_lg_u32 s44, 0
	s_addc_u32 s41, s41, s48
	v_readfirstlane_b32 s44, v1
	s_mul_i32 s48, s45, s41
	s_mul_hi_u32 s49, s45, s44
	s_mul_i32 s47, s47, s44
	s_add_i32 s48, s49, s48
	s_mul_i32 s45, s45, s44
	s_add_i32 s48, s48, s47
	s_mul_hi_u32 s49, s41, s45
	s_mul_i32 s50, s41, s45
	s_mul_hi_u32 s45, s44, s45
	s_mul_hi_u32 s51, s44, s48
	s_mul_i32 s44, s44, s48
	s_mul_hi_u32 s47, s41, s48
	s_add_u32 s44, s45, s44
	s_addc_u32 s45, 0, s51
	s_add_u32 s44, s44, s50
	s_mul_i32 s48, s41, s48
	s_addc_u32 s44, s45, s49
	s_addc_u32 s45, s47, 0
	s_add_u32 s44, s44, s48
	s_addc_u32 s45, 0, s45
	v_add_co_u32 v1, s44, v1, s44
	s_cmp_lg_u32 s44, 0
	s_addc_u32 s41, s41, s45
	v_readfirstlane_b32 s44, v1
	s_mul_i32 s47, s8, s41
	s_mul_hi_u32 s45, s8, s41
	s_mul_hi_u32 s48, s9, s41
	s_mul_i32 s41, s9, s41
	s_mul_hi_u32 s49, s8, s44
	s_mul_hi_u32 s50, s9, s44
	s_mul_i32 s44, s9, s44
	s_add_u32 s47, s49, s47
	s_addc_u32 s45, 0, s45
	s_add_u32 s44, s47, s44
	s_addc_u32 s44, s45, s50
	s_addc_u32 s45, s48, 0
	s_add_u32 s44, s44, s41
	s_addc_u32 s45, 0, s45
	s_mul_hi_u32 s41, s42, s44
	s_mul_i32 s48, s42, s45
	s_mul_i32 s49, s42, s44
	s_add_i32 s41, s41, s48
	v_sub_co_u32 v1, s48, s8, s49
	s_mul_i32 s47, s43, s44
	s_add_i32 s41, s41, s47
	v_sub_co_u32 v2, s49, v1, s42
	s_sub_i32 s47, s9, s41
	s_cmp_lg_u32 s48, 0
	s_subb_u32 s47, s47, s43
	s_cmp_lg_u32 s49, 0
	v_readfirstlane_b32 s49, v2
	s_subb_u32 s47, s47, 0
	s_cmp_ge_u32 s47, s43
	s_cselect_b32 s50, -1, 0
	s_cmp_ge_u32 s49, s42
	s_cselect_b32 s49, -1, 0
	s_cmp_eq_u32 s47, s43
	s_cselect_b32 s47, s49, s50
	s_add_u32 s49, s44, 1
	s_addc_u32 s50, s45, 0
	s_add_u32 s51, s44, 2
	s_addc_u32 s52, s45, 0
	s_cmp_lg_u32 s47, 0
	s_cselect_b32 s47, s51, s49
	s_cselect_b32 s49, s52, s50
	s_cmp_lg_u32 s48, 0
	v_readfirstlane_b32 s48, v1
	s_subb_u32 s41, s9, s41
	s_cmp_ge_u32 s41, s43
	s_cselect_b32 s50, -1, 0
	s_cmp_ge_u32 s48, s42
	s_cselect_b32 s48, -1, 0
	s_cmp_eq_u32 s41, s43
	s_cselect_b32 s41, s48, s50
	s_cmp_lg_u32 s41, 0
	s_mov_b32 s41, 0
	s_cselect_b32 s45, s49, s45
	s_cselect_b32 s44, s47, s44
.LBB0_8:                                ;   in Loop: Header=BB0_6 Depth=1
	s_andn2_b32 vcc_lo, exec_lo, s41
	s_cbranch_vccnz .LBB0_10
; %bb.9:                                ;   in Loop: Header=BB0_6 Depth=1
	v_cvt_f32_u32_e32 v1, s42
	s_sub_i32 s44, 0, s42
	v_rcp_iflag_f32_e32 v1, v1
	v_mul_f32_e32 v1, 0x4f7ffffe, v1
	v_cvt_u32_f32_e32 v1, v1
	v_readfirstlane_b32 s41, v1
	s_mul_i32 s44, s44, s41
	s_mul_hi_u32 s44, s41, s44
	s_add_i32 s41, s41, s44
	s_mul_hi_u32 s41, s8, s41
	s_mul_i32 s44, s41, s42
	s_add_i32 s45, s41, 1
	s_sub_i32 s44, s8, s44
	s_sub_i32 s47, s44, s42
	s_cmp_ge_u32 s44, s42
	s_cselect_b32 s41, s45, s41
	s_cselect_b32 s44, s47, s44
	s_add_i32 s45, s41, 1
	s_cmp_ge_u32 s44, s42
	s_cselect_b32 s44, s45, s41
	s_mov_b32 s45, s40
.LBB0_10:                               ;   in Loop: Header=BB0_6 Depth=1
	s_load_dwordx2 s[48:49], s[36:37], 0x0
	s_load_dwordx2 s[50:51], s[4:5], 0x0
	s_mul_i32 s1, s42, s1
	s_mul_hi_u32 s41, s42, s0
	s_mul_i32 s47, s43, s0
	s_mul_i32 s43, s44, s43
	s_mul_hi_u32 s52, s44, s42
	s_mul_i32 s53, s45, s42
	s_add_i32 s1, s41, s1
	s_add_i32 s41, s52, s43
	s_mul_i32 s54, s44, s42
	s_add_i32 s1, s1, s47
	s_add_i32 s41, s41, s53
	s_sub_u32 s8, s8, s54
	s_subb_u32 s9, s9, s41
	s_mul_i32 s0, s42, s0
	s_waitcnt lgkmcnt(0)
	s_mul_i32 s41, s48, s9
	s_mul_hi_u32 s43, s48, s8
	s_mul_i32 s47, s49, s8
	s_add_i32 s41, s43, s41
	s_mul_i32 s48, s48, s8
	s_mul_i32 s9, s50, s9
	s_mul_hi_u32 s43, s50, s8
	s_add_i32 s41, s41, s47
	s_add_u32 s27, s48, s27
	s_addc_u32 s46, s41, s46
	s_add_i32 s9, s43, s9
	s_mul_i32 s41, s51, s8
	s_mul_i32 s8, s50, s8
	s_add_i32 s9, s9, s41
	s_add_u32 s2, s8, s2
	s_addc_u32 s3, s9, s3
	s_add_u32 s38, s38, 1
	s_addc_u32 s39, s39, 0
	s_add_u32 s4, s4, 8
	v_cmp_ge_u64_e64 s8, s[38:39], s[10:11]
	s_addc_u32 s5, s5, 0
	s_add_u32 s36, s36, 8
	s_addc_u32 s37, s37, 0
	s_add_u32 s12, s12, 8
	s_addc_u32 s13, s13, 0
	s_and_b32 vcc_lo, exec_lo, s8
	s_cbranch_vccnz .LBB0_12
; %bb.11:                               ;   in Loop: Header=BB0_6 Depth=1
	s_mov_b64 s[8:9], s[44:45]
	s_branch .LBB0_6
.LBB0_12:
	v_cmp_lt_u64_e64 s1, s[6:7], s[0:1]
	s_mov_b64 s[8:9], 0
	s_and_b32 vcc_lo, exec_lo, s1
	s_cbranch_vccnz .LBB0_14
; %bb.13:
	v_cvt_f32_u32_e32 v1, s0
	s_sub_i32 s4, 0, s0
	v_rcp_iflag_f32_e32 v1, v1
	v_mul_f32_e32 v1, 0x4f7ffffe, v1
	v_cvt_u32_f32_e32 v1, v1
	v_readfirstlane_b32 s1, v1
	s_mul_i32 s4, s4, s1
	s_mul_hi_u32 s4, s1, s4
	s_add_i32 s1, s1, s4
	s_mul_hi_u32 s1, s6, s1
	s_mul_i32 s4, s1, s0
	s_add_i32 s5, s1, 1
	s_sub_i32 s4, s6, s4
	s_sub_i32 s6, s4, s0
	s_cmp_ge_u32 s4, s0
	s_cselect_b32 s1, s5, s1
	s_cselect_b32 s4, s6, s4
	s_add_i32 s5, s1, 1
	s_cmp_ge_u32 s4, s0
	s_cselect_b32 s8, s5, s1
.LBB0_14:
	s_lshl_b64 s[10:11], s[10:11], 3
	v_mul_hi_u32 v19, 0x1999999a, v0
	s_add_u32 s0, s14, s10
	s_addc_u32 s1, s15, s11
	s_mov_b32 s7, 0x31014000
	s_load_dword s9, s[0:1], 0x0
	v_cmp_gt_u32_e64 s0, 0xf0, v0
	v_cmp_lt_u32_e64 s1, 0xef, v0
	s_mov_b32 s6, -2
	v_mul_u32_u24_e32 v2, 10, v19
	v_add_nc_u32_e32 v5, 48, v19
	v_cndmask_b32_e64 v1, 0, 1, s0
	v_mul_lo_u32 v3, s24, v19
	v_add_nc_u32_e32 v7, 0x60, v19
	v_sub_nc_u32_e32 v18, v0, v2
	v_add_nc_u32_e32 v8, 0x90, v19
	v_mul_lo_u32 v5, s24, v5
	v_add_nc_u32_e32 v4, 24, v19
	v_add_nc_u32_e32 v2, 0x78, v19
	v_add_co_u32 v13, s12, s33, v18
	v_add_co_ci_u32_e64 v14, null, s25, 0, s12
	v_mul_lo_u32 v11, s26, v18
	v_add_nc_u32_e32 v6, 0x48, v19
	s_waitcnt lgkmcnt(0)
	s_mul_i32 s9, s9, s8
	v_cmp_gt_u64_e32 vcc_lo, s[34:35], v[13:14]
	s_add_i32 s14, s9, s27
	s_add_u32 s10, s30, s10
	s_addc_u32 s11, s31, s11
	s_add_u32 s12, s33, 10
	s_addc_u32 s13, s25, 0
	v_cndmask_b32_e64 v10, 0, 1, vcc_lo
	v_cmp_le_u64_e64 s9, s[12:13], s[34:35]
	v_add_nc_u32_e32 v9, 0xa8, v19
	v_mul_lo_u32 v7, s24, v7
	v_mul_lo_u32 v8, s24, v8
	;; [unrolled: 1-line block ×4, first 2 shown]
	s_or_b32 s1, s1, s9
	v_mul_lo_u32 v6, s24, v6
	v_cndmask_b32_e64 v1, v10, v1, s1
	v_add_lshl_u32 v3, v11, v3, 3
	v_add_lshl_u32 v5, v11, v5, 3
	v_mul_lo_u32 v9, s24, v9
	v_add_lshl_u32 v7, v11, v7, 3
	v_and_b32_e32 v1, 1, v1
	v_add_lshl_u32 v4, v11, v4, 3
	v_add_lshl_u32 v10, v11, v2, 3
	;; [unrolled: 1-line block ×3, first 2 shown]
	s_mov_b32 s4, s20
	v_cmp_eq_u32_e64 s1, 1, v1
	s_mov_b32 s5, s21
	s_lshl_b32 s12, s14, 3
	v_mul_u32_u24_e32 v20, 0x50, v19
	v_cndmask_b32_e64 v1, -1, v3, s1
	v_cndmask_b32_e64 v3, -1, v5, s1
	v_add_lshl_u32 v5, v11, v8, 3
	v_add_lshl_u32 v8, v11, v9, 3
	v_cndmask_b32_e64 v7, -1, v7, s1
	v_cndmask_b32_e64 v12, -1, v4, s1
	;; [unrolled: 1-line block ×6, first 2 shown]
	s_clause 0x7
	buffer_load_dwordx2 v[1:2], v1, s[4:7], s12 offen
	buffer_load_dwordx2 v[3:4], v3, s[4:7], s12 offen
	;; [unrolled: 1-line block ×8, first 2 shown]
	s_waitcnt vmcnt(4)
	v_sub_f32_e32 v7, v3, v7
	v_sub_f32_e32 v5, v1, v5
	;; [unrolled: 1-line block ×4, first 2 shown]
	s_waitcnt vmcnt(2)
	v_sub_f32_e32 v11, v9, v11
	v_sub_f32_e32 v12, v10, v12
	s_waitcnt vmcnt(0)
	v_sub_f32_e32 v16, v14, v16
	v_sub_f32_e32 v17, v15, v17
	v_fma_f32 v1, v1, 2.0, -v5
	v_fma_f32 v2, v2, 2.0, -v6
	;; [unrolled: 1-line block ×8, first 2 shown]
	v_sub_f32_e32 v21, v5, v8
	v_add_f32_e32 v22, v6, v7
	v_sub_f32_e32 v23, v11, v17
	v_add_f32_e32 v24, v12, v16
	v_sub_f32_e32 v3, v1, v3
	v_sub_f32_e32 v4, v2, v4
	v_fma_f32 v25, v5, 2.0, -v21
	v_fma_f32 v26, v6, 2.0, -v22
	v_sub_f32_e32 v5, v9, v14
	v_sub_f32_e32 v6, v10, v15
	v_fma_f32 v11, v11, 2.0, -v23
	v_fma_f32 v12, v12, 2.0, -v24
	v_fmamk_f32 v14, v23, 0x3f3504f3, v21
	v_fmamk_f32 v15, v24, 0x3f3504f3, v22
	v_fma_f32 v1, v1, 2.0, -v3
	v_fma_f32 v2, v2, 2.0, -v4
	;; [unrolled: 1-line block ×4, first 2 shown]
	v_fmamk_f32 v7, v11, 0xbf3504f3, v25
	v_fmamk_f32 v8, v12, 0xbf3504f3, v26
	v_sub_f32_e32 v16, v3, v6
	v_add_f32_e32 v17, v4, v5
	v_fmac_f32_e32 v14, 0xbf3504f3, v24
	v_fmac_f32_e32 v15, 0x3f3504f3, v23
	v_sub_f32_e32 v5, v1, v9
	v_sub_f32_e32 v6, v2, v10
	v_fmac_f32_e32 v7, 0xbf3504f3, v12
	v_fmac_f32_e32 v8, 0x3f3504f3, v11
	v_fma_f32 v9, v3, 2.0, -v16
	v_fma_f32 v10, v4, 2.0, -v17
	;; [unrolled: 1-line block ×8, first 2 shown]
	v_lshlrev_b32_e32 v21, 3, v18
	s_and_saveexec_b32 s1, s0
	s_cbranch_execz .LBB0_16
; %bb.15:
	v_lshlrev_b32_e32 v22, 3, v20
	v_add3_u32 v22, 0, v22, v21
	ds_write2_b64 v22, v[1:2], v[3:4] offset1:10
	ds_write2_b64 v22, v[9:10], v[11:12] offset0:20 offset1:30
	ds_write2_b64 v22, v[5:6], v[7:8] offset0:40 offset1:50
	;; [unrolled: 1-line block ×3, first 2 shown]
.LBB0_16:
	s_or_b32 exec_lo, exec_lo, s1
	v_cmp_gt_u32_e64 s0, 0x140, v0
	s_waitcnt lgkmcnt(0)
	s_barrier
	buffer_gl0_inv
	s_and_saveexec_b32 s1, s0
	s_cbranch_execz .LBB0_18
; %bb.17:
	v_add3_u32 v5, 0, v20, v21
	ds_read2st64_b64 v[1:4], v5 offset1:5
	ds_read2st64_b64 v[9:12], v5 offset0:10 offset1:15
	ds_read2st64_b64 v[5:8], v5 offset0:20 offset1:25
.LBB0_18:
	s_or_b32 exec_lo, exec_lo, s1
	s_waitcnt lgkmcnt(0)
	s_barrier
	buffer_gl0_inv
	s_and_saveexec_b32 s1, s0
	s_cbranch_execz .LBB0_20
; %bb.19:
	v_and_b32_e32 v28, 7, v19
	v_lshrrev_b32_e32 v29, 3, v19
	v_mul_u32_u24_e32 v14, 5, v28
	v_mul_u32_u24_e32 v29, 48, v29
	v_lshlrev_b32_e32 v26, 3, v14
	v_or_b32_e32 v28, v29, v28
	s_clause 0x2
	global_load_dwordx4 v[14:17], v26, s[28:29]
	global_load_dwordx4 v[22:25], v26, s[28:29] offset:16
	global_load_dwordx2 v[26:27], v26, s[28:29] offset:32
	v_mul_u32_u24_e32 v28, 0x50, v28
	v_add3_u32 v28, 0, v28, v21
	v_add_nc_u32_e32 v29, 0x800, v28
	s_waitcnt vmcnt(2)
	v_mul_f32_e32 v30, v10, v17
	s_waitcnt vmcnt(1)
	v_mul_f32_e32 v31, v6, v25
	v_mul_f32_e32 v17, v9, v17
	;; [unrolled: 1-line block ×4, first 2 shown]
	s_waitcnt vmcnt(0)
	v_mul_f32_e32 v34, v8, v27
	v_mul_f32_e32 v23, v11, v23
	;; [unrolled: 1-line block ×5, first 2 shown]
	v_fmac_f32_e32 v17, v10, v16
	v_fmac_f32_e32 v25, v6, v24
	v_fma_f32 v6, v11, v22, -v33
	v_fma_f32 v7, v7, v26, -v34
	v_fmac_f32_e32 v23, v12, v22
	v_fmac_f32_e32 v27, v8, v26
	v_fma_f32 v9, v9, v16, -v30
	v_fma_f32 v5, v5, v24, -v31
	;; [unrolled: 1-line block ×3, first 2 shown]
	v_fmac_f32_e32 v15, v4, v14
	v_add_f32_e32 v8, v17, v25
	v_add_f32_e32 v10, v6, v7
	;; [unrolled: 1-line block ×3, first 2 shown]
	v_sub_f32_e32 v4, v9, v5
	v_sub_f32_e32 v11, v23, v27
	;; [unrolled: 1-line block ×3, first 2 shown]
	v_add_f32_e32 v16, v2, v17
	v_add_f32_e32 v22, v15, v23
	;; [unrolled: 1-line block ×5, first 2 shown]
	v_fma_f32 v24, -0.5, v8, v2
	v_fma_f32 v8, -0.5, v10, v3
	;; [unrolled: 1-line block ×3, first 2 shown]
	v_add_f32_e32 v10, v16, v25
	v_add_f32_e32 v14, v22, v27
	v_add_f32_e32 v5, v9, v5
	v_fmamk_f32 v9, v11, 0xbf5db3d7, v8
	v_fmamk_f32 v16, v12, 0x3f5db3d7, v3
	v_fmac_f32_e32 v3, 0xbf5db3d7, v12
	v_fmac_f32_e32 v8, 0x3f5db3d7, v11
	v_sub_f32_e32 v17, v17, v25
	v_fma_f32 v15, -0.5, v23, v1
	v_add_f32_e32 v6, v6, v7
	v_fmamk_f32 v7, v4, 0x3f5db3d7, v24
	v_fmac_f32_e32 v24, 0xbf5db3d7, v4
	v_sub_f32_e32 v2, v10, v14
	v_mul_f32_e32 v11, -0.5, v16
	v_mul_f32_e32 v12, 0xbf5db3d7, v8
	v_add_f32_e32 v4, v10, v14
	v_mul_f32_e32 v14, 0x3f5db3d7, v3
	v_fmamk_f32 v22, v17, 0xbf5db3d7, v15
	v_fmac_f32_e32 v15, 0x3f5db3d7, v17
	v_mul_f32_e32 v17, -0.5, v9
	v_fmac_f32_e32 v11, 0xbf5db3d7, v9
	v_fmac_f32_e32 v12, 0.5, v3
	v_fmac_f32_e32 v14, 0.5, v8
	v_sub_f32_e32 v1, v5, v6
	v_fmac_f32_e32 v17, 0x3f5db3d7, v16
	v_add_f32_e32 v3, v5, v6
	v_sub_f32_e32 v6, v7, v11
	v_sub_f32_e32 v8, v24, v12
	v_add_f32_e32 v10, v7, v11
	v_add_f32_e32 v12, v24, v12
	;; [unrolled: 1-line block ×4, first 2 shown]
	v_sub_f32_e32 v5, v22, v17
	v_sub_f32_e32 v7, v15, v14
	ds_write2_b64 v28, v[3:4], v[11:12] offset1:80
	ds_write2_b64 v28, v[9:10], v[1:2] offset0:160 offset1:240
	ds_write2_b64 v29, v[7:8], v[5:6] offset0:64 offset1:144
.LBB0_20:
	s_or_b32 exec_lo, exec_lo, s1
	s_or_b32 s0, s9, vcc_lo
	s_waitcnt lgkmcnt(0)
	s_barrier
	buffer_gl0_inv
	s_and_saveexec_b32 s1, s0
	s_cbranch_execz .LBB0_22
; %bb.21:
	v_mul_hi_u32 v1, 0x5555556, v19
	v_mad_u64_u32 v[7:8], null, s18, v18, 0
	v_mul_hi_u32_u24_e32 v14, 0x888889, v0
	v_add3_u32 v17, 0, v20, v21
	v_mul_lo_u32 v25, 0xffffffd0, v13
	s_add_i32 s4, 0, 0x3c00
	v_mul_u32_u24_e32 v1, 48, v1
	v_mov_b32_e32 v0, v8
	v_mul_u32_u24_e32 v8, 0xc0, v14
	v_sub_nc_u32_e32 v19, v19, v1
	v_mul_u32_u24_e32 v1, 3, v19
	v_or_b32_e32 v26, v8, v19
	v_mul_lo_u32 v20, v19, v13
	v_lshlrev_b32_e32 v5, 3, v1
	v_add_nc_u32_e32 v30, 48, v26
	v_add_nc_u32_e32 v32, 0x60, v26
	;; [unrolled: 1-line block ×3, first 2 shown]
	s_clause 0x1
	global_load_dwordx4 v[1:4], v5, s[28:29] offset:320
	global_load_dwordx2 v[5:6], v5, s[28:29] offset:336
	s_load_dwordx2 s[0:1], s[10:11], 0x0
	ds_read_b64 v[9:10], v17
	ds_read_b64 v[11:12], v17 offset:11520
	v_and_b32_e32 v27, 31, v20
	v_lshrrev_b32_e32 v28, 7, v20
	v_lshrrev_b32_e32 v29, 2, v20
	v_mad_u64_u32 v[21:22], null, s16, v32, 0
	v_mad_u64_u32 v[23:24], null, s16, v33, 0
	v_lshl_add_u32 v27, v27, 3, 0
	v_and_b32_e32 v28, 0xf8, v28
	v_and_b32_e32 v29, 0xf8, v29
	s_waitcnt lgkmcnt(0)
	s_mul_i32 s1, s1, s8
	s_mul_hi_u32 s5, s0, s8
	s_mul_i32 s0, s0, s8
	s_add_i32 s1, s5, s1
	s_lshl_b64 s[0:1], s[0:1], 3
	s_add_u32 s5, s22, s0
	s_addc_u32 s6, s23, s1
	s_lshl_b64 s[0:1], s[2:3], 3
	s_add_u32 s0, s5, s0
	s_addc_u32 s1, s6, s1
	s_waitcnt vmcnt(1)
	v_mad_u64_u32 v[14:15], null, s19, v18, v[0:1]
	v_add_nc_u32_e32 v0, 0x90, v19
	ds_read_b64 v[15:16], v17 offset:7680
	ds_read_b64 v[17:18], v17 offset:3840
	v_mad_u64_u32 v[19:20], null, s16, v30, 0
	v_mul_lo_u32 v0, v0, v13
	v_mov_b32_e32 v8, v14
	v_mad_u64_u32 v[13:14], null, s16, v26, 0
	v_lshlrev_b64 v[7:8], 3, v[7:8]
	v_lshrrev_b32_e32 v31, 7, v0
	v_and_b32_e32 v34, 31, v0
	v_lshrrev_b32_e32 v35, 2, v0
	v_add_nc_u32_e32 v36, v0, v25
	v_mov_b32_e32 v0, v14
	v_and_b32_e32 v31, 0xf8, v31
	v_mov_b32_e32 v14, v22
	v_add_co_u32 v44, vcc_lo, s0, v7
	v_add_nc_u32_e32 v37, v36, v25
	v_mad_u64_u32 v[25:26], null, s17, v26, v[0:1]
	v_mov_b32_e32 v0, v20
	v_mov_b32_e32 v20, v24
	v_lshrrev_b32_e32 v38, 7, v36
	v_add_co_ci_u32_e32 v45, vcc_lo, s1, v8, vcc_lo
	v_and_b32_e32 v39, 31, v36
	v_lshrrev_b32_e32 v36, 2, v36
	ds_read_b64 v[7:8], v27 offset:15360
	ds_read_b32 v46, v27 offset:15364
	v_add_nc_u32_e32 v27, s4, v28
	v_add_nc_u32_e32 v40, s4, v31
	v_mad_u64_u32 v[30:31], null, s17, v30, v[0:1]
	v_add_nc_u32_e32 v28, s4, v29
	s_waitcnt lgkmcnt(3)
	v_mad_u64_u32 v[31:32], null, s17, v32, v[14:15]
	v_and_b32_e32 v35, 0xf8, v35
	v_mad_u64_u32 v[32:33], null, s17, v33, v[20:21]
	v_and_b32_e32 v22, 31, v37
	v_and_b32_e32 v24, 0xf8, v38
	v_lshl_add_u32 v38, v39, 3, 0
	v_and_b32_e32 v36, 0xf8, v36
	v_lshrrev_b32_e32 v39, 7, v37
	v_lshrrev_b32_e32 v37, 2, v37
	ds_read_b64 v[26:27], v27 offset:512
	ds_read_b64 v[28:29], v28 offset:256
	v_lshl_add_u32 v34, v34, 3, 0
	v_add_nc_u32_e32 v35, s4, v35
	v_lshl_add_u32 v0, v22, 3, 0
	v_mov_b32_e32 v14, v25
	v_add_nc_u32_e32 v25, s4, v24
	v_add_nc_u32_e32 v41, s4, v36
	v_and_b32_e32 v42, 0xf8, v39
	v_and_b32_e32 v43, 0xf8, v37
	v_mov_b32_e32 v20, v30
	v_mov_b32_e32 v22, v31
	;; [unrolled: 1-line block ×3, first 2 shown]
	ds_read_b64 v[30:31], v40 offset:512
	ds_read_b32 v47, v34 offset:15360
	ds_read_b64 v[32:33], v35 offset:256
	ds_read_b64 v[34:35], v0 offset:15360
	ds_read_b32 v0, v0 offset:15364
	ds_read_b64 v[36:37], v25 offset:512
	ds_read_b32 v25, v38 offset:15360
	ds_read_b64 v[38:39], v41 offset:256
	v_add_nc_u32_e32 v40, s4, v42
	v_add_nc_u32_e32 v42, s4, v43
	ds_read_b64 v[40:41], v40 offset:512
	ds_read_b64 v[42:43], v42 offset:256
	v_lshlrev_b64 v[13:14], 3, v[13:14]
	s_waitcnt lgkmcnt(10)
	v_mul_f32_e32 v48, v46, v29
	v_mul_f32_e32 v29, v7, v29
	v_lshlrev_b64 v[19:20], 3, v[19:20]
	v_lshlrev_b64 v[21:22], 3, v[21:22]
	;; [unrolled: 1-line block ×3, first 2 shown]
	v_fma_f32 v7, v7, v28, -v48
	v_fmac_f32_e32 v29, v46, v28
	s_waitcnt lgkmcnt(7)
	v_mul_f32_e32 v49, v47, v33
	s_waitcnt lgkmcnt(6)
	v_mul_f32_e32 v28, v35, v33
	v_add_co_u32 v13, vcc_lo, v44, v13
	v_add_co_ci_u32_e32 v14, vcc_lo, v45, v14, vcc_lo
	v_fmac_f32_e32 v49, v35, v32
	s_waitcnt lgkmcnt(2)
	v_mul_f32_e32 v35, v25, v39
	v_mul_f32_e32 v33, v8, v39
	;; [unrolled: 1-line block ×4, first 2 shown]
	v_fma_f32 v28, v47, v32, -v28
	v_mul_f32_e32 v32, v49, v31
	v_fmac_f32_e32 v35, v8, v38
	v_fma_f32 v25, v25, v38, -v33
	s_waitcnt lgkmcnt(0)
	v_mul_f32_e32 v33, v34, v43
	v_fma_f32 v38, v26, v7, -v39
	v_fmac_f32_e32 v27, v26, v29
	v_fma_f32 v26, v30, v28, -v32
	v_mul_f32_e32 v7, v28, v31
	v_mul_f32_e32 v28, v35, v37
	;; [unrolled: 1-line block ×4, first 2 shown]
	v_fmac_f32_e32 v33, v0, v42
	v_fmac_f32_e32 v7, v30, v49
	v_fma_f32 v0, v36, v25, -v28
	v_mul_f32_e32 v25, v4, v15
	v_mul_f32_e32 v28, v2, v18
	s_waitcnt vmcnt(0)
	v_mul_f32_e32 v30, v6, v12
	v_mul_f32_e32 v4, v4, v16
	;; [unrolled: 1-line block ×4, first 2 shown]
	v_fmac_f32_e32 v25, v3, v16
	v_fma_f32 v16, v1, v17, -v28
	v_fma_f32 v11, v5, v11, -v30
	;; [unrolled: 1-line block ×3, first 2 shown]
	v_fmac_f32_e32 v2, v1, v18
	v_fmac_f32_e32 v6, v5, v12
	v_sub_f32_e32 v4, v10, v25
	v_sub_f32_e32 v5, v16, v11
	;; [unrolled: 1-line block ×3, first 2 shown]
	v_fma_f32 v8, v34, v42, -v8
	v_sub_f32_e32 v6, v2, v6
	v_fma_f32 v10, v10, 2.0, -v4
	v_add_f32_e32 v12, v4, v5
	v_fma_f32 v9, v9, 2.0, -v3
	v_fma_f32 v5, v16, 2.0, -v5
	;; [unrolled: 1-line block ×3, first 2 shown]
	v_mul_f32_e32 v1, v33, v41
	v_sub_f32_e32 v15, v3, v6
	v_mul_f32_e32 v11, v8, v41
	v_sub_f32_e32 v17, v9, v5
	v_sub_f32_e32 v2, v10, v2
	v_fma_f32 v8, v40, v8, -v1
	v_mul_f32_e32 v1, v15, v7
	v_fmac_f32_e32 v11, v40, v33
	v_fma_f32 v6, v9, 2.0, -v17
	v_fma_f32 v9, v10, 2.0, -v2
	;; [unrolled: 1-line block ×4, first 2 shown]
	v_fmac_f32_e32 v29, v36, v35
	v_add_co_u32 v19, vcc_lo, v44, v19
	v_mul_f32_e32 v16, v12, v7
	v_fmac_f32_e32 v1, v12, v26
	v_mul_f32_e32 v7, v6, v27
	v_mul_f32_e32 v12, v9, v27
	;; [unrolled: 1-line block ×4, first 2 shown]
	v_add_co_ci_u32_e32 v20, vcc_lo, v45, v20, vcc_lo
	v_mul_f32_e32 v3, v17, v29
	v_mul_f32_e32 v10, v2, v29
	v_add_co_u32 v21, vcc_lo, v44, v21
	v_add_co_ci_u32_e32 v22, vcc_lo, v45, v22, vcc_lo
	v_fmac_f32_e32 v7, v9, v38
	v_fma_f32 v6, v6, v38, -v12
	v_add_co_u32 v23, vcc_lo, v44, v23
	v_fmac_f32_e32 v5, v4, v8
	v_fma_f32 v4, v18, v8, -v11
	v_fmac_f32_e32 v3, v2, v0
	v_fma_f32 v2, v17, v0, -v10
	v_add_co_ci_u32_e32 v24, vcc_lo, v45, v24, vcc_lo
	v_fma_f32 v0, v15, v26, -v16
	global_store_dwordx2 v[13:14], v[6:7], off
	global_store_dwordx2 v[19:20], v[4:5], off
	;; [unrolled: 1-line block ×4, first 2 shown]
.LBB0_22:
	s_endpgm
	.section	.rodata,"a",@progbits
	.p2align	6, 0x0
	.amdhsa_kernel fft_rtc_fwd_len192_factors_8_6_4_wgs_480_tpt_48_sp_op_CI_CI_sbcc_twdbase5_3step_dirReg_intrinsicRead
		.amdhsa_group_segment_fixed_size 0
		.amdhsa_private_segment_fixed_size 0
		.amdhsa_kernarg_size 112
		.amdhsa_user_sgpr_count 6
		.amdhsa_user_sgpr_private_segment_buffer 1
		.amdhsa_user_sgpr_dispatch_ptr 0
		.amdhsa_user_sgpr_queue_ptr 0
		.amdhsa_user_sgpr_kernarg_segment_ptr 1
		.amdhsa_user_sgpr_dispatch_id 0
		.amdhsa_user_sgpr_flat_scratch_init 0
		.amdhsa_user_sgpr_private_segment_size 0
		.amdhsa_wavefront_size32 1
		.amdhsa_uses_dynamic_stack 0
		.amdhsa_system_sgpr_private_segment_wavefront_offset 0
		.amdhsa_system_sgpr_workgroup_id_x 1
		.amdhsa_system_sgpr_workgroup_id_y 0
		.amdhsa_system_sgpr_workgroup_id_z 0
		.amdhsa_system_sgpr_workgroup_info 0
		.amdhsa_system_vgpr_workitem_id 0
		.amdhsa_next_free_vgpr 50
		.amdhsa_next_free_sgpr 55
		.amdhsa_reserve_vcc 1
		.amdhsa_reserve_flat_scratch 0
		.amdhsa_float_round_mode_32 0
		.amdhsa_float_round_mode_16_64 0
		.amdhsa_float_denorm_mode_32 3
		.amdhsa_float_denorm_mode_16_64 3
		.amdhsa_dx10_clamp 1
		.amdhsa_ieee_mode 1
		.amdhsa_fp16_overflow 0
		.amdhsa_workgroup_processor_mode 1
		.amdhsa_memory_ordered 1
		.amdhsa_forward_progress 0
		.amdhsa_shared_vgpr_count 0
		.amdhsa_exception_fp_ieee_invalid_op 0
		.amdhsa_exception_fp_denorm_src 0
		.amdhsa_exception_fp_ieee_div_zero 0
		.amdhsa_exception_fp_ieee_overflow 0
		.amdhsa_exception_fp_ieee_underflow 0
		.amdhsa_exception_fp_ieee_inexact 0
		.amdhsa_exception_int_div_zero 0
	.end_amdhsa_kernel
	.text
.Lfunc_end0:
	.size	fft_rtc_fwd_len192_factors_8_6_4_wgs_480_tpt_48_sp_op_CI_CI_sbcc_twdbase5_3step_dirReg_intrinsicRead, .Lfunc_end0-fft_rtc_fwd_len192_factors_8_6_4_wgs_480_tpt_48_sp_op_CI_CI_sbcc_twdbase5_3step_dirReg_intrinsicRead
                                        ; -- End function
	.section	.AMDGPU.csdata,"",@progbits
; Kernel info:
; codeLenInByte = 4336
; NumSgprs: 57
; NumVgprs: 50
; ScratchSize: 0
; MemoryBound: 0
; FloatMode: 240
; IeeeMode: 1
; LDSByteSize: 0 bytes/workgroup (compile time only)
; SGPRBlocks: 7
; VGPRBlocks: 6
; NumSGPRsForWavesPerEU: 57
; NumVGPRsForWavesPerEU: 50
; Occupancy: 15
; WaveLimiterHint : 1
; COMPUTE_PGM_RSRC2:SCRATCH_EN: 0
; COMPUTE_PGM_RSRC2:USER_SGPR: 6
; COMPUTE_PGM_RSRC2:TRAP_HANDLER: 0
; COMPUTE_PGM_RSRC2:TGID_X_EN: 1
; COMPUTE_PGM_RSRC2:TGID_Y_EN: 0
; COMPUTE_PGM_RSRC2:TGID_Z_EN: 0
; COMPUTE_PGM_RSRC2:TIDIG_COMP_CNT: 0
	.text
	.p2alignl 6, 3214868480
	.fill 48, 4, 3214868480
	.type	__hip_cuid_cf4be67cfcc5a3bc,@object ; @__hip_cuid_cf4be67cfcc5a3bc
	.section	.bss,"aw",@nobits
	.globl	__hip_cuid_cf4be67cfcc5a3bc
__hip_cuid_cf4be67cfcc5a3bc:
	.byte	0                               ; 0x0
	.size	__hip_cuid_cf4be67cfcc5a3bc, 1

	.ident	"AMD clang version 19.0.0git (https://github.com/RadeonOpenCompute/llvm-project roc-6.4.0 25133 c7fe45cf4b819c5991fe208aaa96edf142730f1d)"
	.section	".note.GNU-stack","",@progbits
	.addrsig
	.addrsig_sym __hip_cuid_cf4be67cfcc5a3bc
	.amdgpu_metadata
---
amdhsa.kernels:
  - .args:
      - .actual_access:  read_only
        .address_space:  global
        .offset:         0
        .size:           8
        .value_kind:     global_buffer
      - .address_space:  global
        .offset:         8
        .size:           8
        .value_kind:     global_buffer
      - .offset:         16
        .size:           8
        .value_kind:     by_value
      - .actual_access:  read_only
        .address_space:  global
        .offset:         24
        .size:           8
        .value_kind:     global_buffer
      - .actual_access:  read_only
        .address_space:  global
        .offset:         32
        .size:           8
        .value_kind:     global_buffer
      - .actual_access:  read_only
        .address_space:  global
        .offset:         40
        .size:           8
        .value_kind:     global_buffer
      - .offset:         48
        .size:           8
        .value_kind:     by_value
      - .actual_access:  read_only
        .address_space:  global
        .offset:         56
        .size:           8
        .value_kind:     global_buffer
      - .actual_access:  read_only
        .address_space:  global
        .offset:         64
        .size:           8
        .value_kind:     global_buffer
      - .offset:         72
        .size:           4
        .value_kind:     by_value
      - .actual_access:  read_only
        .address_space:  global
        .offset:         80
        .size:           8
        .value_kind:     global_buffer
      - .actual_access:  read_only
        .address_space:  global
        .offset:         88
        .size:           8
        .value_kind:     global_buffer
      - .address_space:  global
        .offset:         96
        .size:           8
        .value_kind:     global_buffer
      - .actual_access:  write_only
        .address_space:  global
        .offset:         104
        .size:           8
        .value_kind:     global_buffer
    .group_segment_fixed_size: 0
    .kernarg_segment_align: 8
    .kernarg_segment_size: 112
    .language:       OpenCL C
    .language_version:
      - 2
      - 0
    .max_flat_workgroup_size: 480
    .name:           fft_rtc_fwd_len192_factors_8_6_4_wgs_480_tpt_48_sp_op_CI_CI_sbcc_twdbase5_3step_dirReg_intrinsicRead
    .private_segment_fixed_size: 0
    .sgpr_count:     57
    .sgpr_spill_count: 0
    .symbol:         fft_rtc_fwd_len192_factors_8_6_4_wgs_480_tpt_48_sp_op_CI_CI_sbcc_twdbase5_3step_dirReg_intrinsicRead.kd
    .uniform_work_group_size: 1
    .uses_dynamic_stack: false
    .vgpr_count:     50
    .vgpr_spill_count: 0
    .wavefront_size: 32
    .workgroup_processor_mode: 1
amdhsa.target:   amdgcn-amd-amdhsa--gfx1030
amdhsa.version:
  - 1
  - 2
...

	.end_amdgpu_metadata
